;; amdgpu-corpus repo=ROCm/rocFFT kind=compiled arch=gfx1030 opt=O3
	.text
	.amdgcn_target "amdgcn-amd-amdhsa--gfx1030"
	.amdhsa_code_object_version 6
	.protected	fft_rtc_back_len1331_factors_11_11_11_wgs_242_tpt_121_halfLds_dp_op_CI_CI_unitstride_sbrr_dirReg ; -- Begin function fft_rtc_back_len1331_factors_11_11_11_wgs_242_tpt_121_halfLds_dp_op_CI_CI_unitstride_sbrr_dirReg
	.globl	fft_rtc_back_len1331_factors_11_11_11_wgs_242_tpt_121_halfLds_dp_op_CI_CI_unitstride_sbrr_dirReg
	.p2align	8
	.type	fft_rtc_back_len1331_factors_11_11_11_wgs_242_tpt_121_halfLds_dp_op_CI_CI_unitstride_sbrr_dirReg,@function
fft_rtc_back_len1331_factors_11_11_11_wgs_242_tpt_121_halfLds_dp_op_CI_CI_unitstride_sbrr_dirReg: ; @fft_rtc_back_len1331_factors_11_11_11_wgs_242_tpt_121_halfLds_dp_op_CI_CI_unitstride_sbrr_dirReg
; %bb.0:
	s_clause 0x2
	s_load_dwordx4 s[12:15], s[4:5], 0x0
	s_load_dwordx4 s[8:11], s[4:5], 0x58
	;; [unrolled: 1-line block ×3, first 2 shown]
	v_mul_u32_u24_e32 v1, 0x21e, v0
	v_mov_b32_e32 v4, 0
	v_mov_b32_e32 v5, 0
	v_lshrrev_b32_e32 v54, 16, v1
	v_mov_b32_e32 v1, 0
	v_lshl_add_u32 v6, s6, 1, v54
	v_mov_b32_e32 v7, v1
	s_waitcnt lgkmcnt(0)
	v_cmp_lt_u64_e64 s0, s[14:15], 2
	s_and_b32 vcc_lo, exec_lo, s0
	s_cbranch_vccnz .LBB0_8
; %bb.1:
	s_load_dwordx2 s[0:1], s[4:5], 0x10
	v_mov_b32_e32 v4, 0
	v_mov_b32_e32 v5, 0
	s_add_u32 s2, s18, 8
	s_addc_u32 s3, s19, 0
	s_add_u32 s6, s16, 8
	s_addc_u32 s7, s17, 0
	v_mov_b32_e32 v81, v5
	v_mov_b32_e32 v80, v4
	s_mov_b64 s[22:23], 1
	s_waitcnt lgkmcnt(0)
	s_add_u32 s20, s0, 8
	s_addc_u32 s21, s1, 0
.LBB0_2:                                ; =>This Inner Loop Header: Depth=1
	s_load_dwordx2 s[24:25], s[20:21], 0x0
                                        ; implicit-def: $vgpr82_vgpr83
	s_mov_b32 s0, exec_lo
	s_waitcnt lgkmcnt(0)
	v_or_b32_e32 v2, s25, v7
	v_cmpx_ne_u64_e32 0, v[1:2]
	s_xor_b32 s1, exec_lo, s0
	s_cbranch_execz .LBB0_4
; %bb.3:                                ;   in Loop: Header=BB0_2 Depth=1
	v_cvt_f32_u32_e32 v2, s24
	v_cvt_f32_u32_e32 v3, s25
	s_sub_u32 s0, 0, s24
	s_subb_u32 s26, 0, s25
	v_fmac_f32_e32 v2, 0x4f800000, v3
	v_rcp_f32_e32 v2, v2
	v_mul_f32_e32 v2, 0x5f7ffffc, v2
	v_mul_f32_e32 v3, 0x2f800000, v2
	v_trunc_f32_e32 v3, v3
	v_fmac_f32_e32 v2, 0xcf800000, v3
	v_cvt_u32_f32_e32 v3, v3
	v_cvt_u32_f32_e32 v2, v2
	v_mul_lo_u32 v8, s0, v3
	v_mul_hi_u32 v9, s0, v2
	v_mul_lo_u32 v10, s26, v2
	v_add_nc_u32_e32 v8, v9, v8
	v_mul_lo_u32 v9, s0, v2
	v_add_nc_u32_e32 v8, v8, v10
	v_mul_hi_u32 v10, v2, v9
	v_mul_lo_u32 v11, v2, v8
	v_mul_hi_u32 v12, v2, v8
	v_mul_hi_u32 v13, v3, v9
	v_mul_lo_u32 v9, v3, v9
	v_mul_hi_u32 v14, v3, v8
	v_mul_lo_u32 v8, v3, v8
	v_add_co_u32 v10, vcc_lo, v10, v11
	v_add_co_ci_u32_e32 v11, vcc_lo, 0, v12, vcc_lo
	v_add_co_u32 v9, vcc_lo, v10, v9
	v_add_co_ci_u32_e32 v9, vcc_lo, v11, v13, vcc_lo
	v_add_co_ci_u32_e32 v10, vcc_lo, 0, v14, vcc_lo
	v_add_co_u32 v8, vcc_lo, v9, v8
	v_add_co_ci_u32_e32 v9, vcc_lo, 0, v10, vcc_lo
	v_add_co_u32 v2, vcc_lo, v2, v8
	v_add_co_ci_u32_e32 v3, vcc_lo, v3, v9, vcc_lo
	v_mul_hi_u32 v8, s0, v2
	v_mul_lo_u32 v10, s26, v2
	v_mul_lo_u32 v9, s0, v3
	v_add_nc_u32_e32 v8, v8, v9
	v_mul_lo_u32 v9, s0, v2
	v_add_nc_u32_e32 v8, v8, v10
	v_mul_hi_u32 v10, v2, v9
	v_mul_lo_u32 v11, v2, v8
	v_mul_hi_u32 v12, v2, v8
	v_mul_hi_u32 v13, v3, v9
	v_mul_lo_u32 v9, v3, v9
	v_mul_hi_u32 v14, v3, v8
	v_mul_lo_u32 v8, v3, v8
	v_add_co_u32 v10, vcc_lo, v10, v11
	v_add_co_ci_u32_e32 v11, vcc_lo, 0, v12, vcc_lo
	v_add_co_u32 v9, vcc_lo, v10, v9
	v_add_co_ci_u32_e32 v9, vcc_lo, v11, v13, vcc_lo
	v_add_co_ci_u32_e32 v10, vcc_lo, 0, v14, vcc_lo
	v_add_co_u32 v8, vcc_lo, v9, v8
	v_add_co_ci_u32_e32 v9, vcc_lo, 0, v10, vcc_lo
	v_add_co_u32 v8, vcc_lo, v2, v8
	v_add_co_ci_u32_e32 v10, vcc_lo, v3, v9, vcc_lo
	v_mul_hi_u32 v12, v6, v8
	v_mad_u64_u32 v[8:9], null, v7, v8, 0
	v_mad_u64_u32 v[2:3], null, v6, v10, 0
	v_mad_u64_u32 v[10:11], null, v7, v10, 0
	v_add_co_u32 v2, vcc_lo, v12, v2
	v_add_co_ci_u32_e32 v3, vcc_lo, 0, v3, vcc_lo
	v_add_co_u32 v2, vcc_lo, v2, v8
	v_add_co_ci_u32_e32 v2, vcc_lo, v3, v9, vcc_lo
	v_add_co_ci_u32_e32 v3, vcc_lo, 0, v11, vcc_lo
	v_add_co_u32 v8, vcc_lo, v2, v10
	v_add_co_ci_u32_e32 v9, vcc_lo, 0, v3, vcc_lo
	v_mul_lo_u32 v10, s25, v8
	v_mad_u64_u32 v[2:3], null, s24, v8, 0
	v_mul_lo_u32 v11, s24, v9
	v_sub_co_u32 v2, vcc_lo, v6, v2
	v_add3_u32 v3, v3, v11, v10
	v_sub_nc_u32_e32 v10, v7, v3
	v_subrev_co_ci_u32_e64 v10, s0, s25, v10, vcc_lo
	v_add_co_u32 v11, s0, v8, 2
	v_add_co_ci_u32_e64 v12, s0, 0, v9, s0
	v_sub_co_u32 v13, s0, v2, s24
	v_sub_co_ci_u32_e32 v3, vcc_lo, v7, v3, vcc_lo
	v_subrev_co_ci_u32_e64 v10, s0, 0, v10, s0
	v_cmp_le_u32_e32 vcc_lo, s24, v13
	v_cmp_eq_u32_e64 s0, s25, v3
	v_cndmask_b32_e64 v13, 0, -1, vcc_lo
	v_cmp_le_u32_e32 vcc_lo, s25, v10
	v_cndmask_b32_e64 v14, 0, -1, vcc_lo
	v_cmp_le_u32_e32 vcc_lo, s24, v2
	;; [unrolled: 2-line block ×3, first 2 shown]
	v_cndmask_b32_e64 v15, 0, -1, vcc_lo
	v_cmp_eq_u32_e32 vcc_lo, s25, v10
	v_cndmask_b32_e64 v2, v15, v2, s0
	v_cndmask_b32_e32 v10, v14, v13, vcc_lo
	v_add_co_u32 v13, vcc_lo, v8, 1
	v_add_co_ci_u32_e32 v14, vcc_lo, 0, v9, vcc_lo
	v_cmp_ne_u32_e32 vcc_lo, 0, v10
	v_cndmask_b32_e32 v3, v14, v12, vcc_lo
	v_cndmask_b32_e32 v10, v13, v11, vcc_lo
	v_cmp_ne_u32_e32 vcc_lo, 0, v2
	v_cndmask_b32_e32 v83, v9, v3, vcc_lo
	v_cndmask_b32_e32 v82, v8, v10, vcc_lo
.LBB0_4:                                ;   in Loop: Header=BB0_2 Depth=1
	s_andn2_saveexec_b32 s0, s1
	s_cbranch_execz .LBB0_6
; %bb.5:                                ;   in Loop: Header=BB0_2 Depth=1
	v_cvt_f32_u32_e32 v2, s24
	s_sub_i32 s1, 0, s24
	v_mov_b32_e32 v83, v1
	v_rcp_iflag_f32_e32 v2, v2
	v_mul_f32_e32 v2, 0x4f7ffffe, v2
	v_cvt_u32_f32_e32 v2, v2
	v_mul_lo_u32 v3, s1, v2
	v_mul_hi_u32 v3, v2, v3
	v_add_nc_u32_e32 v2, v2, v3
	v_mul_hi_u32 v2, v6, v2
	v_mul_lo_u32 v3, v2, s24
	v_add_nc_u32_e32 v8, 1, v2
	v_sub_nc_u32_e32 v3, v6, v3
	v_subrev_nc_u32_e32 v9, s24, v3
	v_cmp_le_u32_e32 vcc_lo, s24, v3
	v_cndmask_b32_e32 v3, v3, v9, vcc_lo
	v_cndmask_b32_e32 v2, v2, v8, vcc_lo
	v_cmp_le_u32_e32 vcc_lo, s24, v3
	v_add_nc_u32_e32 v8, 1, v2
	v_cndmask_b32_e32 v82, v2, v8, vcc_lo
.LBB0_6:                                ;   in Loop: Header=BB0_2 Depth=1
	s_or_b32 exec_lo, exec_lo, s0
	v_mul_lo_u32 v8, v83, s24
	v_mul_lo_u32 v9, v82, s25
	s_load_dwordx2 s[0:1], s[6:7], 0x0
	v_mad_u64_u32 v[2:3], null, v82, s24, 0
	s_load_dwordx2 s[24:25], s[2:3], 0x0
	s_add_u32 s22, s22, 1
	s_addc_u32 s23, s23, 0
	s_add_u32 s2, s2, 8
	s_addc_u32 s3, s3, 0
	s_add_u32 s6, s6, 8
	v_add3_u32 v3, v3, v9, v8
	v_sub_co_u32 v2, vcc_lo, v6, v2
	s_addc_u32 s7, s7, 0
	s_add_u32 s20, s20, 8
	v_sub_co_ci_u32_e32 v3, vcc_lo, v7, v3, vcc_lo
	s_addc_u32 s21, s21, 0
	s_waitcnt lgkmcnt(0)
	v_mul_lo_u32 v6, s0, v3
	v_mul_lo_u32 v7, s1, v2
	v_mad_u64_u32 v[4:5], null, s0, v2, v[4:5]
	v_mul_lo_u32 v3, s24, v3
	v_mul_lo_u32 v8, s25, v2
	v_mad_u64_u32 v[80:81], null, s24, v2, v[80:81]
	v_cmp_ge_u64_e64 s0, s[22:23], s[14:15]
	v_add3_u32 v5, v7, v5, v6
	v_add3_u32 v81, v8, v81, v3
	s_and_b32 vcc_lo, exec_lo, s0
	s_cbranch_vccnz .LBB0_9
; %bb.7:                                ;   in Loop: Header=BB0_2 Depth=1
	v_mov_b32_e32 v6, v82
	v_mov_b32_e32 v7, v83
	s_branch .LBB0_2
.LBB0_8:
	v_mov_b32_e32 v81, v5
	v_mov_b32_e32 v83, v7
	;; [unrolled: 1-line block ×4, first 2 shown]
.LBB0_9:
	s_load_dwordx2 s[0:1], s[4:5], 0x28
	v_mul_hi_u32 v1, 0x21d9eae, v0
	s_lshl_b64 s[2:3], s[14:15], 3
                                        ; implicit-def: $sgpr4_sgpr5
                                        ; implicit-def: $vgpr86
	s_add_u32 s36, s18, s2
	s_addc_u32 s37, s19, s3
	s_waitcnt lgkmcnt(0)
	v_cmp_gt_u64_e32 vcc_lo, s[0:1], v[82:83]
	v_cmp_le_u64_e64 s0, s[0:1], v[82:83]
	s_and_saveexec_b32 s1, s0
	s_xor_b32 s0, exec_lo, s1
; %bb.10:
	v_mul_u32_u24_e32 v1, 0x79, v1
	s_mov_b64 s[4:5], 0
                                        ; implicit-def: $vgpr4_vgpr5
	v_sub_nc_u32_e32 v86, v0, v1
                                        ; implicit-def: $vgpr1
                                        ; implicit-def: $vgpr0
; %bb.11:
	s_or_saveexec_b32 s1, s0
	v_mov_b32_e32 v85, s5
	v_mov_b32_e32 v84, s4
                                        ; implicit-def: $vgpr6_vgpr7
                                        ; implicit-def: $vgpr10_vgpr11
                                        ; implicit-def: $vgpr14_vgpr15
                                        ; implicit-def: $vgpr18_vgpr19
                                        ; implicit-def: $vgpr22_vgpr23
                                        ; implicit-def: $vgpr26_vgpr27
                                        ; implicit-def: $vgpr30_vgpr31
                                        ; implicit-def: $vgpr38_vgpr39
                                        ; implicit-def: $vgpr42_vgpr43
                                        ; implicit-def: $vgpr34_vgpr35
                                        ; implicit-def: $vgpr2_vgpr3
	s_xor_b32 exec_lo, exec_lo, s1
	s_cbranch_execz .LBB0_13
; %bb.12:
	s_add_u32 s2, s16, s2
	s_addc_u32 s3, s17, s3
	v_mov_b32_e32 v87, 0
	s_load_dwordx2 s[2:3], s[2:3], 0x0
	s_waitcnt lgkmcnt(0)
	v_mul_lo_u32 v6, s3, v82
	v_mul_lo_u32 v7, s2, v83
	v_mad_u64_u32 v[2:3], null, s2, v82, 0
	v_add3_u32 v3, v3, v7, v6
	v_mul_u32_u24_e32 v6, 0x79, v1
	v_lshlrev_b64 v[1:2], 4, v[2:3]
	v_lshlrev_b64 v[3:4], 4, v[4:5]
	v_sub_nc_u32_e32 v86, v0, v6
	v_add_co_u32 v0, s0, s8, v1
	v_add_co_ci_u32_e64 v1, s0, s9, v2, s0
	v_lshlrev_b32_e32 v2, 4, v86
	v_add_co_u32 v0, s0, v0, v3
	v_add_co_ci_u32_e64 v1, s0, v1, v4, s0
	v_mov_b32_e32 v84, v86
	v_add_co_u32 v4, s0, v0, v2
	v_add_co_ci_u32_e64 v5, s0, 0, v1, s0
	v_mov_b32_e32 v85, v87
	v_add_co_u32 v6, s0, 0x800, v4
	v_add_co_ci_u32_e64 v7, s0, 0, v5, s0
	v_add_co_u32 v8, s0, 0x1000, v4
	v_add_co_ci_u32_e64 v9, s0, 0, v5, s0
	;; [unrolled: 2-line block ×8, first 2 shown]
	s_clause 0x1
	global_load_dwordx4 v[0:3], v[4:5], off
	global_load_dwordx4 v[32:35], v[4:5], off offset:1936
	v_add_co_u32 v4, s0, 0x4800, v4
	v_add_co_ci_u32_e64 v5, s0, 0, v5, s0
	s_clause 0x8
	global_load_dwordx4 v[40:43], v[6:7], off offset:1824
	global_load_dwordx4 v[36:39], v[8:9], off offset:1712
	;; [unrolled: 1-line block ×9, first 2 shown]
.LBB0_13:
	s_or_b32 exec_lo, exec_lo, s1
	s_waitcnt vmcnt(9)
	v_add_f64 v[55:56], v[32:33], v[0:1]
	v_add_f64 v[57:58], v[34:35], v[2:3]
	s_waitcnt vmcnt(2)
	v_add_f64 v[61:62], v[12:13], v[36:37]
	v_add_f64 v[63:64], v[14:15], v[38:39]
	v_add_f64 v[65:66], v[36:37], -v[12:13]
	v_add_f64 v[67:68], v[38:39], -v[14:15]
	v_add_f64 v[50:51], v[16:17], v[28:29]
	v_add_f64 v[46:47], v[18:19], v[30:31]
	v_add_f64 v[69:70], v[28:29], -v[16:17]
	v_add_f64 v[71:72], v[30:31], -v[18:19]
	s_waitcnt vmcnt(0)
	v_add_f64 v[59:60], v[34:35], -v[6:7]
	v_add_f64 v[48:49], v[20:21], v[24:25]
	v_add_f64 v[44:45], v[22:23], v[26:27]
	v_add_f64 v[52:53], v[24:25], -v[20:21]
	v_add_f64 v[73:74], v[26:27], -v[22:23]
	v_add_f64 v[75:76], v[4:5], v[32:33]
	v_add_f64 v[32:33], v[32:33], -v[4:5]
	s_mov_b32 s16, 0xf8bb580b
	s_mov_b32 s18, 0x8eee2c13
	;; [unrolled: 1-line block ×5, first 2 shown]
	v_add_f64 v[55:56], v[40:41], v[55:56]
	v_add_f64 v[57:58], v[42:43], v[57:58]
	s_mov_b32 s17, 0xbfe14ced
	s_mov_b32 s19, 0xbfed1bb4
	;; [unrolled: 1-line block ×5, first 2 shown]
	v_add_f64 v[34:35], v[6:7], v[34:35]
	v_add_f64 v[77:78], v[8:9], v[40:41]
	;; [unrolled: 1-line block ×3, first 2 shown]
	v_add_f64 v[40:41], v[40:41], -v[8:9]
	v_add_f64 v[42:43], v[42:43], -v[10:11]
	v_mul_f64 v[89:90], v[59:60], s[20:21]
	v_mul_f64 v[91:92], v[59:60], s[22:23]
	s_mov_b32 s8, 0x8764f0ba
	s_mov_b32 s2, 0xd9c712b6
	v_mul_f64 v[93:94], v[32:33], s[16:17]
	v_mul_f64 v[95:96], v[32:33], s[18:19]
	;; [unrolled: 1-line block ×3, first 2 shown]
	s_mov_b32 s4, 0x640f44db
	s_mov_b32 s6, 0x7f775887
	;; [unrolled: 1-line block ×3, first 2 shown]
	v_add_f64 v[36:37], v[36:37], v[55:56]
	v_add_f64 v[38:39], v[38:39], v[57:58]
	v_mul_f64 v[55:56], v[59:60], s[16:17]
	v_mul_f64 v[57:58], v[59:60], s[18:19]
	;; [unrolled: 1-line block ×3, first 2 shown]
	s_mov_b32 s9, 0x3feaeb8c
	s_mov_b32 s3, 0x3fda9628
	;; [unrolled: 1-line block ×11, first 2 shown]
	v_mul_f64 v[99:100], v[32:33], s[22:23]
	v_mul_f64 v[32:33], v[32:33], s[24:25]
	;; [unrolled: 1-line block ×5, first 2 shown]
	v_fma_f64 v[133:134], v[75:76], s[4:5], v[89:90]
	v_add_f64 v[28:29], v[28:29], v[36:37]
	v_add_f64 v[30:31], v[30:31], v[38:39]
	v_mul_f64 v[36:37], v[42:43], s[22:23]
	v_mul_f64 v[38:39], v[42:43], s[26:27]
	;; [unrolled: 1-line block ×3, first 2 shown]
	v_fma_f64 v[131:132], v[75:76], s[2:3], v[57:58]
	v_fma_f64 v[57:58], v[75:76], s[2:3], -v[57:58]
	v_fma_f64 v[89:90], v[75:76], s[4:5], -v[89:90]
	v_fma_f64 v[135:136], v[75:76], s[6:7], v[91:92]
	v_fma_f64 v[91:92], v[75:76], s[6:7], -v[91:92]
	v_fma_f64 v[137:138], v[75:76], s[14:15], v[59:60]
	v_fma_f64 v[59:60], v[75:76], s[14:15], -v[59:60]
	s_mov_b32 s35, 0x3fed1bb4
	s_mov_b32 s34, s18
	v_mul_f64 v[107:108], v[40:41], s[22:23]
	v_mul_f64 v[109:110], v[40:41], s[26:27]
	;; [unrolled: 1-line block ×8, first 2 shown]
	v_add_f64 v[24:25], v[24:25], v[28:29]
	v_add_f64 v[26:27], v[26:27], v[30:31]
	v_fma_f64 v[30:31], v[75:76], s[8:9], v[55:56]
	v_fma_f64 v[55:56], v[75:76], s[8:9], -v[55:56]
	v_fma_f64 v[75:76], v[34:35], s[8:9], -v[93:94]
	v_mul_f64 v[67:68], v[67:68], s[22:23]
	v_mul_f64 v[121:122], v[65:66], s[20:21]
	;; [unrolled: 1-line block ×6, first 2 shown]
	v_fma_f64 v[93:94], v[34:35], s[8:9], v[93:94]
	v_fma_f64 v[139:140], v[34:35], s[2:3], -v[95:96]
	v_fma_f64 v[95:96], v[34:35], s[2:3], v[95:96]
	v_fma_f64 v[141:142], v[34:35], s[4:5], -v[97:98]
	;; [unrolled: 2-line block ×5, first 2 shown]
	v_fma_f64 v[149:150], v[77:78], s[8:9], v[42:43]
	v_add_f64 v[20:21], v[20:21], v[24:25]
	v_add_f64 v[22:23], v[22:23], v[26:27]
	v_fma_f64 v[24:25], v[34:35], s[14:15], v[32:33]
	v_fma_f64 v[26:27], v[77:78], s[2:3], v[101:102]
	v_fma_f64 v[32:33], v[77:78], s[2:3], -v[101:102]
	v_fma_f64 v[34:35], v[77:78], s[6:7], v[36:37]
	v_fma_f64 v[36:37], v[77:78], s[6:7], -v[36:37]
	;; [unrolled: 2-line block ×3, first 2 shown]
	v_fma_f64 v[42:43], v[77:78], s[8:9], -v[42:43]
	v_fma_f64 v[77:78], v[87:88], s[2:3], -v[105:106]
	v_add_f64 v[55:56], v[0:1], v[55:56]
	v_fma_f64 v[105:106], v[87:88], s[2:3], v[105:106]
	v_fma_f64 v[151:152], v[87:88], s[6:7], -v[107:108]
	v_fma_f64 v[107:108], v[87:88], s[6:7], v[107:108]
	v_fma_f64 v[153:154], v[87:88], s[14:15], -v[109:110]
	;; [unrolled: 2-line block ×5, first 2 shown]
	v_add_f64 v[16:17], v[16:17], v[20:21]
	v_add_f64 v[18:19], v[18:19], v[22:23]
	v_fma_f64 v[20:21], v[87:88], s[8:9], v[40:41]
	v_fma_f64 v[22:23], v[61:62], s[4:5], v[113:114]
	v_fma_f64 v[40:41], v[61:62], s[4:5], -v[113:114]
	v_fma_f64 v[87:88], v[61:62], s[14:15], v[115:116]
	v_fma_f64 v[113:114], v[61:62], s[14:15], -v[115:116]
	;; [unrolled: 2-line block ×4, first 2 shown]
	v_fma_f64 v[67:68], v[63:64], s[4:5], -v[121:122]
	v_fma_f64 v[121:122], v[63:64], s[4:5], v[121:122]
	v_fma_f64 v[163:164], v[63:64], s[14:15], -v[123:124]
	v_fma_f64 v[123:124], v[63:64], s[14:15], v[123:124]
	;; [unrolled: 2-line block ×4, first 2 shown]
	v_fma_f64 v[169:170], v[63:64], s[6:7], -v[65:66]
	v_add_f64 v[57:58], v[0:1], v[57:58]
	v_add_f64 v[97:98], v[2:3], v[97:98]
	;; [unrolled: 1-line block ×6, first 2 shown]
	v_fma_f64 v[16:17], v[63:64], s[6:7], v[65:66]
	v_add_f64 v[63:64], v[2:3], v[93:94]
	v_add_f64 v[65:66], v[0:1], v[131:132]
	;; [unrolled: 1-line block ×11, first 2 shown]
	v_mul_f64 v[129:130], v[71:72], s[22:23]
	v_add_f64 v[135:136], v[2:3], v[143:144]
	v_add_f64 v[99:100], v[2:3], v[99:100]
	;; [unrolled: 1-line block ×4, first 2 shown]
	v_mul_f64 v[28:29], v[69:70], s[22:23]
	v_add_f64 v[8:9], v[8:9], v[12:13]
	v_add_f64 v[10:11], v[10:11], v[14:15]
	;; [unrolled: 1-line block ×19, first 2 shown]
	v_mul_f64 v[91:92], v[69:70], s[24:25]
	v_add_f64 v[2:3], v[20:21], v[2:3]
	v_add_f64 v[77:78], v[149:150], v[137:138]
	;; [unrolled: 1-line block ×6, first 2 shown]
	v_mul_f64 v[14:15], v[71:72], s[28:29]
	v_add_f64 v[10:11], v[40:41], v[18:19]
	v_mul_f64 v[18:19], v[69:70], s[28:29]
	v_add_f64 v[20:21], v[87:88], v[26:27]
	v_add_f64 v[22:23], v[163:164], v[30:31]
	;; [unrolled: 1-line block ×4, first 2 shown]
	v_mul_f64 v[34:35], v[71:72], s[16:17]
	v_fma_f64 v[36:37], v[50:51], s[6:7], v[129:130]
	v_add_f64 v[12:13], v[121:122], v[24:25]
	v_add_f64 v[24:25], v[113:114], v[32:33]
	;; [unrolled: 1-line block ×4, first 2 shown]
	v_mul_f64 v[55:56], v[69:70], s[16:17]
	v_fma_f64 v[57:58], v[46:47], s[6:7], -v[28:29]
	v_fma_f64 v[28:29], v[46:47], s[6:7], v[28:29]
	v_mul_f64 v[87:88], v[71:72], s[24:25]
	v_fma_f64 v[67:68], v[50:51], s[6:7], -v[129:130]
	v_add_f64 v[38:39], v[117:118], v[38:39]
	v_add_f64 v[2:3], v[16:17], v[2:3]
	;; [unrolled: 1-line block ×3, first 2 shown]
	v_mul_f64 v[61:62], v[69:70], s[34:35]
	v_fma_f64 v[93:94], v[50:51], s[4:5], v[14:15]
	v_fma_f64 v[14:15], v[50:51], s[4:5], -v[14:15]
	v_fma_f64 v[95:96], v[46:47], s[4:5], -v[18:19]
	v_fma_f64 v[18:19], v[46:47], s[4:5], v[18:19]
	v_add_f64 v[59:60], v[159:160], v[59:60]
	v_add_f64 v[63:64], v[167:168], v[63:64]
	;; [unrolled: 1-line block ×3, first 2 shown]
	v_fma_f64 v[16:17], v[50:51], s[8:9], v[34:35]
	v_add_f64 v[6:7], v[36:37], v[6:7]
	v_mul_f64 v[36:37], v[71:72], s[34:35]
	v_fma_f64 v[34:35], v[50:51], s[8:9], -v[34:35]
	v_mul_f64 v[71:72], v[52:53], s[24:25]
	v_add_f64 v[75:76], v[127:128], v[75:76]
	v_fma_f64 v[69:70], v[46:47], s[8:9], -v[55:56]
	v_add_f64 v[8:9], v[57:58], v[8:9]
	v_add_f64 v[12:13], v[28:29], v[12:13]
	v_mul_f64 v[28:29], v[73:74], s[24:25]
	v_fma_f64 v[55:56], v[46:47], s[8:9], v[55:56]
	v_fma_f64 v[57:58], v[50:51], s[14:15], v[87:88]
	v_add_f64 v[10:11], v[67:68], v[10:11]
	v_fma_f64 v[67:68], v[46:47], s[14:15], -v[91:92]
	v_fma_f64 v[87:88], v[50:51], s[14:15], -v[87:88]
	v_fma_f64 v[91:92], v[46:47], s[14:15], v[91:92]
	v_add_f64 v[14:15], v[14:15], v[24:25]
	v_mul_f64 v[24:25], v[73:74], s[30:31]
	v_add_f64 v[18:19], v[18:19], v[26:27]
	v_mul_f64 v[26:27], v[73:74], s[22:23]
	v_add_f64 v[77:78], v[161:162], v[77:78]
	v_add_f64 v[20:21], v[93:94], v[20:21]
	;; [unrolled: 1-line block ×3, first 2 shown]
	v_mul_f64 v[30:31], v[73:74], s[34:35]
	v_fma_f64 v[93:94], v[50:51], s[2:3], v[36:37]
	v_fma_f64 v[36:37], v[50:51], s[2:3], -v[36:37]
	v_add_f64 v[34:35], v[34:35], v[38:39]
	v_mul_f64 v[38:39], v[73:74], s[20:21]
	v_add_f64 v[22:23], v[95:96], v[22:23]
	v_fma_f64 v[95:96], v[46:47], s[2:3], -v[61:62]
	v_fma_f64 v[46:47], v[46:47], s[2:3], v[61:62]
	v_fma_f64 v[50:51], v[48:49], s[14:15], v[28:29]
	v_add_f64 v[40:41], v[55:56], v[40:41]
	v_add_f64 v[55:56], v[57:58], v[59:60]
	v_fma_f64 v[59:60], v[44:45], s[14:15], -v[71:72]
	v_fma_f64 v[28:29], v[48:49], s[14:15], -v[28:29]
	v_mul_f64 v[61:62], v[52:53], s[30:31]
	v_add_f64 v[89:90], v[157:158], v[139:140]
	v_add_f64 v[57:58], v[67:68], v[63:64]
	;; [unrolled: 1-line block ×3, first 2 shown]
	v_mul_f64 v[65:66], v[52:53], s[22:23]
	v_fma_f64 v[67:68], v[48:49], s[8:9], v[24:25]
	v_fma_f64 v[24:25], v[48:49], s[8:9], -v[24:25]
	v_add_f64 v[73:74], v[91:92], v[75:76]
	v_mul_f64 v[75:76], v[52:53], s[34:35]
	v_mul_f64 v[52:53], v[52:53], s[20:21]
	v_add_f64 v[32:33], v[69:70], v[32:33]
	v_fma_f64 v[69:70], v[48:49], s[6:7], v[26:27]
	v_fma_f64 v[87:88], v[48:49], s[2:3], v[30:31]
	v_add_f64 v[77:78], v[93:94], v[77:78]
	v_add_f64 v[0:1], v[36:37], v[0:1]
	v_fma_f64 v[36:37], v[48:49], s[4:5], v[38:39]
	v_fma_f64 v[30:31], v[48:49], s[2:3], -v[30:31]
	v_add_f64 v[2:3], v[46:47], v[2:3]
	v_fma_f64 v[38:39], v[48:49], s[4:5], -v[38:39]
	v_fma_f64 v[26:27], v[48:49], s[6:7], -v[26:27]
	v_fma_f64 v[46:47], v[44:45], s[14:15], v[71:72]
	v_add_f64 v[48:49], v[59:60], v[8:9]
	v_add_f64 v[8:9], v[28:29], v[10:11]
	v_fma_f64 v[10:11], v[44:45], s[8:9], -v[61:62]
	v_add_f64 v[89:90], v[169:170], v[89:90]
	v_add_f64 v[6:7], v[50:51], v[6:7]
	v_fma_f64 v[28:29], v[44:45], s[8:9], v[61:62]
	v_fma_f64 v[50:51], v[44:45], s[6:7], -v[65:66]
	v_add_f64 v[14:15], v[24:25], v[14:15]
	v_fma_f64 v[24:25], v[44:45], s[6:7], v[65:66]
	v_fma_f64 v[59:60], v[44:45], s[2:3], -v[75:76]
	v_fma_f64 v[61:62], v[44:45], s[2:3], v[75:76]
	v_fma_f64 v[65:66], v[44:45], s[4:5], -v[52:53]
	v_fma_f64 v[44:45], v[44:45], s[4:5], v[52:53]
	v_and_b32_e32 v54, 1, v54
	v_and_b32_e32 v52, 0xff, v86
	v_add_f64 v[20:21], v[67:68], v[20:21]
	v_add_f64 v[16:17], v[69:70], v[16:17]
	;; [unrolled: 1-line block ×8, first 2 shown]
	v_cmp_eq_u32_e64 s0, 1, v54
	v_mul_lo_u16 v12, 0x75, v52
	v_add_f64 v[22:23], v[10:11], v[22:23]
	v_add_f64 v[89:90], v[95:96], v[89:90]
	;; [unrolled: 1-line block ×3, first 2 shown]
	v_cndmask_b32_e64 v103, 0, 0x2998, s0
	v_lshrrev_b16 v11, 8, v12
	v_add_f64 v[32:33], v[50:51], v[32:33]
	s_load_dwordx2 s[0:1], s[36:37], 0x0
	v_add_f64 v[38:39], v[59:60], v[57:58]
	v_add_nc_u32_e32 v10, 0, v103
	v_sub_nc_u16 v12, v86, v11
	v_add_f64 v[44:45], v[44:45], v[2:3]
	v_add_f64 v[24:25], v[24:25], v[40:41]
	;; [unrolled: 1-line block ×3, first 2 shown]
	v_mad_u32_u24 v50, 0x58, v86, v10
	v_lshrrev_b16 v2, 1, v12
	v_lshl_add_u32 v97, v86, 3, v10
	v_mov_b32_e32 v118, 3
	s_mov_b32 s37, 0x3fe82f19
	ds_write2_b64 v50, v[4:5], v[6:7] offset1:1
	ds_write2_b64 v50, v[20:21], v[16:17] offset0:2 offset1:3
	ds_write2_b64 v50, v[55:56], v[36:37] offset0:4 offset1:5
	;; [unrolled: 1-line block ×4, first 2 shown]
	v_and_b32_e32 v0, 0x7f, v2
	v_mad_i32_i24 v99, 0xffffffb0, v86, v50
	ds_write_b64 v50, v[8:9] offset:80
	v_add_f64 v[46:47], v[65:66], v[89:90]
	s_waitcnt lgkmcnt(0)
	v_add_nc_u16 v0, v0, v11
	v_add_nc_u32_e32 v100, 0x800, v99
	v_add_nc_u32_e32 v102, 0x1000, v99
	;; [unrolled: 1-line block ×4, first 2 shown]
	v_lshrrev_b16 v105, 3, v0
	s_barrier
	buffer_gl0_inv
	ds_read_b64 v[87:88], v97
	ds_read2_b64 v[12:15], v99 offset0:121 offset1:242
	ds_read2_b64 v[8:11], v100 offset0:107 offset1:228
	;; [unrolled: 1-line block ×5, first 2 shown]
	v_mul_lo_u16 v20, v105, 11
	s_waitcnt lgkmcnt(0)
	s_barrier
	buffer_gl0_inv
	ds_write2_b64 v50, v[42:43], v[48:49] offset1:1
	v_sub_nc_u16 v104, v86, v20
	v_mov_b32_e32 v20, 10
	ds_write2_b64 v50, v[22:23], v[32:33] offset0:2 offset1:3
	ds_write2_b64 v50, v[38:39], v[46:47] offset0:4 offset1:5
	ds_write2_b64 v50, v[44:45], v[40:41] offset0:6 offset1:7
	ds_write2_b64 v50, v[24:25], v[28:29] offset0:8 offset1:9
	ds_write_b64 v50, v[34:35] offset:80
	v_mul_u32_u24_sdwa v20, v104, v20 dst_sel:DWORD dst_unused:UNUSED_PAD src0_sel:BYTE_0 src1_sel:DWORD
	s_waitcnt lgkmcnt(0)
	s_barrier
	buffer_gl0_inv
	v_lshlrev_b32_sdwa v247, v118, v104 dst_sel:DWORD dst_unused:UNUSED_PAD src0_sel:DWORD src1_sel:BYTE_0
	v_lshlrev_b32_e32 v24, 4, v20
	s_clause 0x9
	global_load_dwordx4 v[20:23], v24, s[12:13]
	global_load_dwordx4 v[56:59], v24, s[12:13] offset:144
	global_load_dwordx4 v[52:55], v24, s[12:13] offset:16
	;; [unrolled: 1-line block ×9, first 2 shown]
	ds_read2_b64 v[72:75], v99 offset0:121 offset1:242
	ds_read2_b64 v[76:79], v98 offset0:65 offset1:186
	;; [unrolled: 1-line block ×5, first 2 shown]
	s_mov_b32 s36, s22
	s_waitcnt vmcnt(9)
	v_mul_f64 v[89:90], v[12:13], v[22:23]
	s_waitcnt lgkmcnt(4)
	v_mul_f64 v[22:23], v[72:73], v[22:23]
	s_waitcnt vmcnt(8) lgkmcnt(3)
	v_mul_f64 v[93:94], v[78:79], v[58:59]
	v_mul_f64 v[95:96], v[18:19], v[58:59]
	s_waitcnt vmcnt(7)
	v_mul_f64 v[91:92], v[74:75], v[54:55]
	s_waitcnt vmcnt(6)
	v_mul_f64 v[58:59], v[16:17], v[50:51]
	s_waitcnt vmcnt(3) lgkmcnt(2)
	v_mul_f64 v[110:111], v[62:63], v[38:39]
	v_mul_f64 v[38:39], v[10:11], v[38:39]
	s_waitcnt vmcnt(2)
	v_mul_f64 v[112:113], v[4:5], v[34:35]
	s_waitcnt lgkmcnt(1)
	v_mul_f64 v[34:35], v[64:65], v[34:35]
	v_mul_f64 v[50:51], v[76:77], v[50:51]
	;; [unrolled: 1-line block ×7, first 2 shown]
	s_waitcnt vmcnt(1) lgkmcnt(0)
	v_mul_f64 v[114:115], v[68:69], v[30:31]
	v_mul_f64 v[30:31], v[0:1], v[30:31]
	s_waitcnt vmcnt(0)
	v_mul_f64 v[116:117], v[2:3], v[26:27]
	v_mul_f64 v[26:27], v[70:71], v[26:27]
	v_fma_f64 v[72:73], v[72:73], v[20:21], -v[89:90]
	v_fma_f64 v[12:13], v[12:13], v[20:21], v[22:23]
	v_fma_f64 v[18:19], v[18:19], v[56:57], v[93:94]
	v_fma_f64 v[78:79], v[78:79], v[56:57], -v[95:96]
	v_fma_f64 v[14:15], v[14:15], v[52:53], v[91:92]
	v_fma_f64 v[22:23], v[76:77], v[48:49], -v[58:59]
	;; [unrolled: 2-line block ×3, first 2 shown]
	v_fma_f64 v[38:39], v[64:65], v[32:33], -v[112:113]
	v_fma_f64 v[4:5], v[4:5], v[32:33], v[34:35]
	v_fma_f64 v[16:17], v[16:17], v[48:49], v[50:51]
	ds_read_b64 v[48:49], v97
	v_and_b32_e32 v50, 0xffff, v105
	v_fma_f64 v[20:21], v[74:75], v[52:53], -v[54:55]
	v_fma_f64 v[8:9], v[8:9], v[40:41], v[106:107]
	v_fma_f64 v[6:7], v[6:7], v[44:45], v[46:47]
	v_fma_f64 v[40:41], v[60:61], v[40:41], -v[42:43]
	v_mad_u32_u24 v246, 0x3c8, v50, 0
	v_fma_f64 v[42:43], v[66:67], v[44:45], -v[108:109]
	v_fma_f64 v[0:1], v[0:1], v[28:29], v[114:115]
	v_fma_f64 v[28:29], v[68:69], v[28:29], -v[30:31]
	v_fma_f64 v[30:31], v[70:71], v[24:25], -v[116:117]
	v_fma_f64 v[2:3], v[2:3], v[24:25], v[26:27]
	s_waitcnt lgkmcnt(0)
	v_add_f64 v[32:33], v[12:13], v[18:19]
	v_add_f64 v[34:35], v[12:13], -v[18:19]
	v_add_f64 v[12:13], v[87:88], v[12:13]
	v_add_f64 v[24:25], v[72:73], -v[78:79]
	v_add_f64 v[26:27], v[72:73], v[78:79]
	s_barrier
	v_add_f64 v[64:65], v[36:37], -v[38:39]
	v_add_f64 v[50:51], v[48:49], v[72:73]
	v_add_f64 v[68:69], v[36:37], v[38:39]
	;; [unrolled: 1-line block ×3, first 2 shown]
	v_add_f64 v[54:55], v[14:15], -v[16:17]
	v_add_f64 v[44:45], v[20:21], -v[22:23]
	v_add_f64 v[52:53], v[20:21], v[22:23]
	v_add_f64 v[58:59], v[8:9], v[6:7]
	v_add_f64 v[62:63], v[8:9], -v[6:7]
	v_add_f64 v[66:67], v[10:11], v[4:5]
	v_add_f64 v[56:57], v[40:41], -v[42:43]
	;; [unrolled: 2-line block ×3, first 2 shown]
	v_add_f64 v[72:73], v[28:29], -v[30:31]
	v_add_f64 v[76:77], v[28:29], v[30:31]
	v_add_f64 v[74:75], v[0:1], v[2:3]
	v_add_f64 v[89:90], v[0:1], -v[2:3]
	buffer_gl0_inv
	v_add_f64 v[12:13], v[12:13], v[14:15]
	v_mul_f64 v[91:92], v[24:25], s[16:17]
	v_mul_f64 v[93:94], v[24:25], s[18:19]
	v_mul_f64 v[95:96], v[24:25], s[20:21]
	v_mul_f64 v[104:105], v[24:25], s[22:23]
	v_add_f64 v[20:21], v[50:51], v[20:21]
	v_mul_f64 v[24:25], v[24:25], s[24:25]
	v_mul_f64 v[106:107], v[26:27], s[8:9]
	;; [unrolled: 1-line block ×16, first 2 shown]
	v_add_f64 v[8:9], v[12:13], v[8:9]
	v_mul_f64 v[126:127], v[56:57], s[20:21]
	v_mul_f64 v[128:129], v[56:57], s[26:27]
	;; [unrolled: 1-line block ×4, first 2 shown]
	v_add_f64 v[12:13], v[20:21], v[40:41]
	v_mul_f64 v[56:57], v[56:57], s[22:23]
	v_mul_f64 v[134:135], v[60:61], s[4:5]
	v_mul_f64 v[136:137], v[60:61], s[14:15]
	v_mul_f64 v[138:139], v[60:61], s[2:3]
	v_mul_f64 v[140:141], v[60:61], s[8:9]
	v_mul_f64 v[60:61], v[60:61], s[6:7]
	v_mul_f64 v[142:143], v[64:65], s[22:23]
	v_mul_f64 v[144:145], v[64:65], s[28:29]
	v_mul_f64 v[146:147], v[64:65], s[16:17]
	v_mul_f64 v[148:149], v[64:65], s[24:25]
	v_mul_f64 v[64:65], v[64:65], s[34:35]
	v_mul_f64 v[150:151], v[68:69], s[6:7]
	v_mul_f64 v[152:153], v[68:69], s[4:5]
	v_mul_f64 v[154:155], v[68:69], s[8:9]
	v_mul_f64 v[156:157], v[68:69], s[14:15]
	v_mul_f64 v[68:69], v[68:69], s[2:3]
	v_add_f64 v[8:9], v[8:9], v[10:11]
	v_mul_f64 v[158:159], v[72:73], s[24:25]
	v_mul_f64 v[160:161], v[72:73], s[30:31]
	;; [unrolled: 1-line block ×10, first 2 shown]
	v_fma_f64 v[174:175], v[32:33], s[8:9], v[91:92]
	v_fma_f64 v[91:92], v[32:33], s[8:9], -v[91:92]
	v_fma_f64 v[176:177], v[32:33], s[2:3], v[93:94]
	v_fma_f64 v[93:94], v[32:33], s[2:3], -v[93:94]
	v_fma_f64 v[178:179], v[32:33], s[4:5], v[95:96]
	v_add_f64 v[12:13], v[12:13], v[36:37]
	v_fma_f64 v[180:181], v[32:33], s[6:7], v[104:105]
	v_fma_f64 v[104:105], v[32:33], s[6:7], -v[104:105]
	v_fma_f64 v[182:183], v[32:33], s[14:15], v[24:25]
	v_fma_f64 v[24:25], v[32:33], s[14:15], -v[24:25]
	v_fma_f64 v[95:96], v[32:33], s[4:5], -v[95:96]
	v_add_f64 v[0:1], v[8:9], v[0:1]
	v_fma_f64 v[32:33], v[34:35], s[30:31], v[106:107]
	v_fma_f64 v[106:107], v[34:35], s[16:17], v[106:107]
	v_fma_f64 v[184:185], v[34:35], s[34:35], v[108:109]
	v_fma_f64 v[108:109], v[34:35], s[18:19], v[108:109]
	v_fma_f64 v[186:187], v[34:35], s[28:29], v[110:111]
	v_fma_f64 v[110:111], v[34:35], s[20:21], v[110:111]
	v_fma_f64 v[188:189], v[34:35], s[36:37], v[112:113]
	v_fma_f64 v[112:113], v[34:35], s[22:23], v[112:113]
	v_fma_f64 v[190:191], v[34:35], s[26:27], v[26:27]
	v_fma_f64 v[26:27], v[34:35], s[24:25], v[26:27]
	v_fma_f64 v[34:35], v[46:47], s[2:3], v[114:115]
	v_fma_f64 v[114:115], v[46:47], s[2:3], -v[114:115]
	v_fma_f64 v[192:193], v[46:47], s[6:7], v[116:117]
	v_fma_f64 v[116:117], v[46:47], s[6:7], -v[116:117]
	v_fma_f64 v[194:195], v[46:47], s[14:15], v[118:119]
	v_fma_f64 v[118:119], v[46:47], s[14:15], -v[118:119]
	v_fma_f64 v[196:197], v[46:47], s[4:5], v[120:121]
	v_fma_f64 v[120:121], v[46:47], s[4:5], -v[120:121]
	v_fma_f64 v[198:199], v[46:47], s[8:9], v[44:45]
	v_fma_f64 v[44:45], v[46:47], s[8:9], -v[44:45]
	v_fma_f64 v[46:47], v[54:55], s[34:35], v[14:15]
	v_fma_f64 v[14:15], v[54:55], s[18:19], v[14:15]
	v_fma_f64 v[200:201], v[54:55], s[36:37], v[50:51]
	v_fma_f64 v[50:51], v[54:55], s[22:23], v[50:51]
	v_fma_f64 v[202:203], v[54:55], s[24:25], v[122:123]
	v_fma_f64 v[122:123], v[54:55], s[26:27], v[122:123]
	v_fma_f64 v[204:205], v[54:55], s[20:21], v[124:125]
	v_fma_f64 v[124:125], v[54:55], s[28:29], v[124:125]
	v_fma_f64 v[206:207], v[54:55], s[16:17], v[52:53]
	v_fma_f64 v[52:53], v[54:55], s[30:31], v[52:53]
	v_fma_f64 v[54:55], v[58:59], s[4:5], v[126:127]
	v_fma_f64 v[126:127], v[58:59], s[4:5], -v[126:127]
	v_fma_f64 v[208:209], v[58:59], s[14:15], v[128:129]
	v_fma_f64 v[128:129], v[58:59], s[14:15], -v[128:129]
	v_fma_f64 v[210:211], v[58:59], s[2:3], v[130:131]
	v_fma_f64 v[130:131], v[58:59], s[2:3], -v[130:131]
	v_fma_f64 v[212:213], v[58:59], s[8:9], v[132:133]
	v_fma_f64 v[132:133], v[58:59], s[8:9], -v[132:133]
	v_fma_f64 v[214:215], v[58:59], s[6:7], v[56:57]
	v_fma_f64 v[56:57], v[58:59], s[6:7], -v[56:57]
	v_fma_f64 v[20:21], v[62:63], s[28:29], v[134:135]
	v_fma_f64 v[40:41], v[62:63], s[20:21], v[134:135]
	v_fma_f64 v[58:59], v[62:63], s[24:25], v[136:137]
	v_fma_f64 v[134:135], v[62:63], s[26:27], v[136:137]
	v_fma_f64 v[136:137], v[62:63], s[18:19], v[138:139]
	v_fma_f64 v[138:139], v[62:63], s[34:35], v[138:139]
	v_fma_f64 v[216:217], v[62:63], s[30:31], v[140:141]
	v_fma_f64 v[140:141], v[62:63], s[16:17], v[140:141]
	v_fma_f64 v[218:219], v[62:63], s[36:37], v[60:61]
	v_fma_f64 v[60:61], v[62:63], s[22:23], v[60:61]
	v_fma_f64 v[62:63], v[66:67], s[6:7], v[142:143]
	v_fma_f64 v[142:143], v[66:67], s[6:7], -v[142:143]
	v_fma_f64 v[220:221], v[66:67], s[4:5], v[144:145]
	v_fma_f64 v[144:145], v[66:67], s[4:5], -v[144:145]
	v_fma_f64 v[222:223], v[66:67], s[8:9], v[146:147]
	v_fma_f64 v[146:147], v[66:67], s[8:9], -v[146:147]
	v_fma_f64 v[224:225], v[66:67], s[14:15], v[148:149]
	v_fma_f64 v[148:149], v[66:67], s[14:15], -v[148:149]
	v_fma_f64 v[226:227], v[66:67], s[2:3], v[64:65]
	v_fma_f64 v[64:65], v[66:67], s[2:3], -v[64:65]
	v_fma_f64 v[10:11], v[70:71], s[36:37], v[150:151]
	v_fma_f64 v[66:67], v[70:71], s[22:23], v[150:151]
	v_fma_f64 v[150:151], v[70:71], s[20:21], v[152:153]
	v_fma_f64 v[152:153], v[70:71], s[28:29], v[152:153]
	v_fma_f64 v[228:229], v[70:71], s[30:31], v[154:155]
	v_fma_f64 v[154:155], v[70:71], s[16:17], v[154:155]
	v_fma_f64 v[230:231], v[70:71], s[26:27], v[156:157]
	v_fma_f64 v[156:157], v[70:71], s[24:25], v[156:157]
	v_fma_f64 v[232:233], v[70:71], s[18:19], v[68:69]
	v_fma_f64 v[68:69], v[70:71], s[34:35], v[68:69]
	v_fma_f64 v[70:71], v[74:75], s[14:15], v[158:159]
	v_fma_f64 v[158:159], v[74:75], s[14:15], -v[158:159]
	v_fma_f64 v[234:235], v[74:75], s[8:9], v[160:161]
	v_fma_f64 v[160:161], v[74:75], s[8:9], -v[160:161]
	v_fma_f64 v[236:237], v[74:75], s[6:7], v[162:163]
	v_fma_f64 v[162:163], v[74:75], s[6:7], -v[162:163]
	v_fma_f64 v[238:239], v[74:75], s[2:3], v[164:165]
	v_fma_f64 v[164:165], v[74:75], s[2:3], -v[164:165]
	v_fma_f64 v[240:241], v[74:75], s[4:5], v[72:73]
	v_fma_f64 v[36:37], v[74:75], s[4:5], -v[72:73]
	v_fma_f64 v[8:9], v[89:90], s[26:27], v[166:167]
	v_fma_f64 v[72:73], v[89:90], s[24:25], v[166:167]
	;; [unrolled: 1-line block ×10, first 2 shown]
	v_add_f64 v[89:90], v[87:88], v[174:175]
	v_add_f64 v[174:175], v[87:88], v[176:177]
	;; [unrolled: 1-line block ×100, first 2 shown]
	v_add3_u32 v60, v246, v247, v103
	v_add_f64 v[28:29], v[8:9], v[2:3]
	v_add_f64 v[44:45], v[72:73], v[4:5]
	;; [unrolled: 1-line block ×6, first 2 shown]
	ds_write2_b64 v60, v[38:39], v[42:43] offset0:22 offset1:33
	ds_write2_b64 v60, v[46:47], v[50:51] offset0:44 offset1:55
	;; [unrolled: 1-line block ×4, first 2 shown]
	v_add_f64 v[24:25], v[12:13], v[78:79]
	ds_write_b64 v60, v[22:23] offset:880
	ds_write2_b64 v60, v[0:1], v[34:35] offset1:11
	s_waitcnt lgkmcnt(0)
	s_barrier
	buffer_gl0_inv
	ds_read_b64 v[48:49], v97
	ds_read2_b64 v[0:3], v99 offset0:121 offset1:242
	ds_read2_b64 v[8:11], v100 offset0:107 offset1:228
	;; [unrolled: 1-line block ×5, first 2 shown]
	v_add_f64 v[20:21], v[242:243], v[20:21]
	v_add_f64 v[32:33], v[244:245], v[32:33]
	;; [unrolled: 1-line block ×4, first 2 shown]
	s_waitcnt lgkmcnt(0)
	s_barrier
	buffer_gl0_inv
	ds_write2_b64 v60, v[24:25], v[28:29] offset1:11
	ds_write2_b64 v60, v[52:53], v[56:57] offset0:22 offset1:33
	ds_write2_b64 v60, v[20:21], v[32:33] offset0:44 offset1:55
	;; [unrolled: 1-line block ×4, first 2 shown]
	ds_write_b64 v60, v[44:45] offset:880
	s_waitcnt lgkmcnt(0)
	s_barrier
	buffer_gl0_inv
	s_and_saveexec_b32 s33, vcc_lo
	s_cbranch_execz .LBB0_15
; %bb.14:
	v_mul_u32_u24_e32 v20, 10, v86
	v_mul_lo_u32 v62, s1, v82
	v_mul_lo_u32 v63, s0, v83
	v_mad_u64_u32 v[66:67], null, s0, v82, 0
	v_lshlrev_b32_e32 v58, 4, v20
	v_lshlrev_b64 v[80:81], 4, v[80:81]
	v_lshlrev_b64 v[82:83], 4, v[84:85]
	s_clause 0x9
	global_load_dwordx4 v[24:27], v58, s[12:13] offset:1824
	global_load_dwordx4 v[20:23], v58, s[12:13] offset:1840
	;; [unrolled: 1-line block ×10, first 2 shown]
	v_add3_u32 v67, v67, v63, v62
	ds_read2_b64 v[62:65], v102 offset0:93 offset1:214
	v_lshlrev_b64 v[78:79], 4, v[66:67]
	ds_read2_b64 v[66:69], v100 offset0:107 offset1:228
	ds_read2_b64 v[70:73], v101 offset0:79 offset1:200
	;; [unrolled: 1-line block ×3, first 2 shown]
	v_add_co_u32 v78, vcc_lo, s10, v78
	v_add_co_ci_u32_e32 v79, vcc_lo, s11, v79, vcc_lo
	v_add_co_u32 v84, vcc_lo, v78, v80
	v_add_co_ci_u32_e32 v85, vcc_lo, v79, v81, vcc_lo
	ds_read2_b64 v[78:81], v98 offset0:65 offset1:186
	v_add_co_u32 v82, vcc_lo, v84, v82
	v_add_co_ci_u32_e32 v83, vcc_lo, v85, v83, vcc_lo
	ds_read_b64 v[84:85], v97
	v_add_co_u32 v86, vcc_lo, 0x800, v82
	v_add_co_ci_u32_e32 v87, vcc_lo, 0, v83, vcc_lo
	v_add_co_u32 v88, vcc_lo, 0x1000, v82
	v_add_co_ci_u32_e32 v89, vcc_lo, 0, v83, vcc_lo
	;; [unrolled: 2-line block ×3, first 2 shown]
	s_waitcnt vmcnt(9)
	v_mul_f64 v[90:91], v[16:17], v[24:25]
	s_waitcnt vmcnt(8)
	v_mul_f64 v[92:93], v[18:19], v[20:21]
	v_mul_f64 v[18:19], v[18:19], v[22:23]
	s_waitcnt vmcnt(7)
	v_mul_f64 v[94:95], v[10:11], v[36:37]
	s_waitcnt vmcnt(6)
	v_mul_f64 v[96:97], v[12:13], v[32:33]
	v_mul_f64 v[12:13], v[12:13], v[34:35]
	s_waitcnt vmcnt(5)
	v_mul_f64 v[98:99], v[8:9], v[40:41]
	;; [unrolled: 3-line block ×3, first 2 shown]
	s_waitcnt vmcnt(0)
	v_mul_f64 v[108:109], v[6:7], v[58:59]
	v_mul_f64 v[0:1], v[0:1], v[56:57]
	v_mul_f64 v[6:7], v[6:7], v[60:61]
	v_mul_f64 v[16:17], v[16:17], v[26:27]
	v_mul_f64 v[10:11], v[10:11], v[38:39]
	v_mul_f64 v[102:103], v[2:3], v[44:45]
	v_mul_f64 v[104:105], v[4:5], v[50:51]
	v_mul_f64 v[2:3], v[2:3], v[46:47]
	v_mul_f64 v[4:5], v[4:5], v[52:53]
	v_mul_f64 v[100:101], v[14:15], v[28:29]
	v_mul_f64 v[14:15], v[14:15], v[30:31]
	s_waitcnt lgkmcnt(5)
	v_fma_f64 v[26:27], v[62:63], v[26:27], v[90:91]
	v_fma_f64 v[22:23], v[64:65], v[22:23], v[92:93]
	v_fma_f64 v[18:19], v[64:65], v[20:21], -v[18:19]
	s_waitcnt lgkmcnt(4)
	v_fma_f64 v[20:21], v[68:69], v[38:39], v[94:95]
	s_waitcnt lgkmcnt(3)
	v_fma_f64 v[12:13], v[70:71], v[32:33], -v[12:13]
	v_fma_f64 v[32:33], v[66:67], v[42:43], v[98:99]
	v_fma_f64 v[8:9], v[66:67], v[40:41], -v[8:9]
	s_waitcnt lgkmcnt(2)
	v_fma_f64 v[38:39], v[74:75], v[56:57], v[106:107]
	s_waitcnt lgkmcnt(1)
	v_fma_f64 v[40:41], v[80:81], v[60:61], v[108:109]
	v_fma_f64 v[0:1], v[74:75], v[54:55], -v[0:1]
	v_fma_f64 v[42:43], v[80:81], v[58:59], -v[6:7]
	;; [unrolled: 1-line block ×3, first 2 shown]
	v_fma_f64 v[24:25], v[70:71], v[34:35], v[96:97]
	v_fma_f64 v[34:35], v[76:77], v[46:47], v[102:103]
	v_fma_f64 v[10:11], v[68:69], v[36:37], -v[10:11]
	v_fma_f64 v[2:3], v[76:77], v[44:45], -v[2:3]
	;; [unrolled: 1-line block ×3, first 2 shown]
	v_fma_f64 v[30:31], v[72:73], v[30:31], v[100:101]
	v_fma_f64 v[36:37], v[78:79], v[52:53], v[104:105]
	v_fma_f64 v[14:15], v[72:73], v[28:29], -v[14:15]
	v_add_co_u32 v44, vcc_lo, 0x2000, v82
	v_add_f64 v[6:7], v[26:27], -v[22:23]
	v_add_f64 v[78:79], v[26:27], v[22:23]
	v_add_co_ci_u32_e32 v45, vcc_lo, 0, v83, vcc_lo
	v_add_co_u32 v46, vcc_lo, 0x2800, v82
	v_add_co_ci_u32_e32 v47, vcc_lo, 0, v83, vcc_lo
	v_add_f64 v[56:57], v[38:39], -v[40:41]
	v_add_f64 v[94:95], v[38:39], v[40:41]
	v_add_f64 v[66:67], v[0:1], -v[42:43]
	v_add_f64 v[76:77], v[0:1], v[42:43]
	s_waitcnt lgkmcnt(0)
	v_add_f64 v[0:1], v[84:85], v[0:1]
	v_add_f64 v[38:39], v[48:49], v[38:39]
	v_add_f64 v[28:29], v[20:21], -v[24:25]
	v_add_f64 v[58:59], v[16:17], -v[18:19]
	;; [unrolled: 1-line block ×3, first 2 shown]
	v_add_f64 v[74:75], v[2:3], v[4:5]
	v_add_f64 v[52:53], v[32:33], -v[30:31]
	v_add_f64 v[54:55], v[34:35], -v[36:37]
	;; [unrolled: 1-line block ×3, first 2 shown]
	v_add_f64 v[70:71], v[10:11], v[12:13]
	v_add_f64 v[60:61], v[10:11], -v[12:13]
	v_add_f64 v[68:69], v[16:17], v[18:19]
	v_add_f64 v[72:73], v[8:9], v[14:15]
	;; [unrolled: 1-line block ×4, first 2 shown]
	v_mul_f64 v[96:97], v[6:7], s[20:21]
	v_mul_f64 v[118:119], v[6:7], s[34:35]
	;; [unrolled: 1-line block ×7, first 2 shown]
	v_add_f64 v[0:1], v[2:3], v[0:1]
	v_add_f64 v[2:3], v[34:35], v[38:39]
	v_mul_f64 v[98:99], v[28:29], s[34:35]
	v_mul_f64 v[120:121], v[28:29], s[24:25]
	v_mul_f64 v[140:141], v[28:29], s[16:17]
	v_mul_f64 v[146:147], v[56:57], s[20:21]
	v_mul_f64 v[156:157], v[66:67], s[20:21]
	v_mul_f64 v[160:161], v[28:29], s[28:29]
	v_mul_f64 v[166:167], v[56:57], s[18:19]
	v_mul_f64 v[176:177], v[66:67], s[18:19]
	v_mul_f64 v[28:29], v[28:29], s[22:23]
	v_mul_f64 v[56:57], v[56:57], s[16:17]
	v_mul_f64 v[66:67], v[66:67], s[16:17]
	v_mul_f64 v[100:101], v[52:53], s[22:23]
	v_mul_f64 v[102:103], v[54:55], s[30:31]
	v_mul_f64 v[106:107], v[58:59], s[20:21]
	v_mul_f64 v[112:113], v[62:63], s[22:23]
	v_mul_f64 v[114:115], v[64:65], s[30:31]
	v_mul_f64 v[122:123], v[52:53], s[16:17]
	v_mul_f64 v[124:125], v[54:55], s[28:29]
	v_mul_f64 v[128:129], v[58:59], s[34:35]
	v_mul_f64 v[132:133], v[62:63], s[16:17]
	v_add_f64 v[0:1], v[8:9], v[0:1]
	v_add_f64 v[2:3], v[32:33], v[2:3]
	v_mul_f64 v[134:135], v[64:65], s[28:29]
	v_mul_f64 v[142:143], v[52:53], s[34:35]
	v_mul_f64 v[144:145], v[54:55], s[26:27]
	v_mul_f64 v[148:149], v[58:59], s[22:23]
	v_mul_f64 v[152:153], v[62:63], s[34:35]
	v_mul_f64 v[154:155], v[64:65], s[26:27]
	v_mul_f64 v[158:159], v[6:7], s[30:31]
	v_mul_f64 v[162:163], v[52:53], s[26:27]
	v_mul_f64 v[164:165], v[54:55], s[22:23]
	v_mul_f64 v[168:169], v[58:59], s[30:31]
	v_mul_f64 v[172:173], v[62:63], s[26:27]
	v_mul_f64 v[174:175], v[64:65], s[22:23]
	v_mul_f64 v[6:7], v[6:7], s[24:25]
	v_mul_f64 v[52:53], v[52:53], s[20:21]
	v_mul_f64 v[54:55], v[54:55], s[18:19]
	v_mul_f64 v[58:59], v[58:59], s[24:25]
	v_mul_f64 v[62:63], v[62:63], s[20:21]
	v_mul_f64 v[64:65], v[64:65], s[18:19]
	v_fma_f64 v[38:39], v[70:71], s[2:3], v[98:99]
	v_fma_f64 v[182:183], v[76:77], s[14:15], v[104:105]
	v_add_f64 v[0:1], v[10:11], v[0:1]
	v_add_f64 v[2:3], v[20:21], v[2:3]
	v_fma_f64 v[192:193], v[94:95], s[14:15], -v[116:117]
	v_fma_f64 v[98:99], v[70:71], s[2:3], -v[98:99]
	;; [unrolled: 1-line block ×3, first 2 shown]
	v_fma_f64 v[116:117], v[94:95], s[14:15], v[116:117]
	v_fma_f64 v[196:197], v[70:71], s[14:15], v[120:121]
	;; [unrolled: 1-line block ×3, first 2 shown]
	v_fma_f64 v[212:213], v[94:95], s[6:7], -v[136:137]
	v_fma_f64 v[120:121], v[70:71], s[14:15], -v[120:121]
	;; [unrolled: 1-line block ×3, first 2 shown]
	v_fma_f64 v[136:137], v[94:95], s[6:7], v[136:137]
	v_fma_f64 v[216:217], v[70:71], s[8:9], v[140:141]
	;; [unrolled: 1-line block ×3, first 2 shown]
	v_fma_f64 v[140:141], v[70:71], s[8:9], -v[140:141]
	v_fma_f64 v[146:147], v[76:77], s[4:5], -v[146:147]
	v_fma_f64 v[8:9], v[70:71], s[4:5], v[160:161]
	v_fma_f64 v[238:239], v[76:77], s[2:3], v[166:167]
	v_fma_f64 v[160:161], v[70:71], s[4:5], -v[160:161]
	v_fma_f64 v[166:167], v[76:77], s[2:3], -v[166:167]
	v_fma_f64 v[10:11], v[70:71], s[6:7], v[28:29]
	v_fma_f64 v[28:29], v[70:71], s[6:7], -v[28:29]
	v_fma_f64 v[70:71], v[76:77], s[8:9], v[56:57]
	v_fma_f64 v[56:57], v[76:77], s[8:9], -v[56:57]
	v_fma_f64 v[76:77], v[94:95], s[8:9], -v[66:67]
	v_fma_f64 v[66:67], v[94:95], s[8:9], v[66:67]
	v_add_f64 v[80:81], v[20:21], v[24:25]
	v_mul_f64 v[108:109], v[60:61], s[34:35]
	v_mul_f64 v[130:131], v[60:61], s[24:25]
	;; [unrolled: 1-line block ×5, first 2 shown]
	v_fma_f64 v[248:249], v[94:95], s[2:3], -v[176:177]
	v_fma_f64 v[176:177], v[94:95], s[2:3], v[176:177]
	v_fma_f64 v[232:233], v[94:95], s[4:5], -v[156:157]
	v_fma_f64 v[156:157], v[94:95], s[4:5], v[156:157]
	v_add_f64 v[0:1], v[16:17], v[0:1]
	v_add_f64 v[2:3], v[26:27], v[2:3]
	v_fma_f64 v[34:35], v[68:69], s[4:5], v[96:97]
	v_fma_f64 v[178:179], v[72:73], s[6:7], v[100:101]
	v_fma_f64 v[180:181], v[74:75], s[8:9], v[102:103]
	v_fma_f64 v[184:185], v[78:79], s[4:5], -v[106:107]
	v_fma_f64 v[188:189], v[90:91], s[6:7], -v[112:113]
	v_fma_f64 v[190:191], v[92:93], s[8:9], -v[114:115]
	v_fma_f64 v[96:97], v[68:69], s[4:5], -v[96:97]
	v_fma_f64 v[100:101], v[72:73], s[6:7], -v[100:101]
	v_fma_f64 v[102:103], v[74:75], s[8:9], -v[102:103]
	v_fma_f64 v[106:107], v[78:79], s[4:5], v[106:107]
	v_fma_f64 v[112:113], v[90:91], s[6:7], v[112:113]
	v_fma_f64 v[114:115], v[92:93], s[8:9], v[114:115]
	v_fma_f64 v[194:195], v[68:69], s[2:3], v[118:119]
	v_fma_f64 v[198:199], v[72:73], s[8:9], v[122:123]
	v_fma_f64 v[200:201], v[74:75], s[4:5], v[124:125]
	v_fma_f64 v[204:205], v[78:79], s[2:3], -v[128:129]
	v_fma_f64 v[208:209], v[90:91], s[8:9], -v[132:133]
	v_fma_f64 v[210:211], v[92:93], s[4:5], -v[134:135]
	v_fma_f64 v[118:119], v[68:69], s[2:3], -v[118:119]
	v_fma_f64 v[122:123], v[72:73], s[8:9], -v[122:123]
	v_fma_f64 v[124:125], v[74:75], s[4:5], -v[124:125]
	v_fma_f64 v[128:129], v[78:79], s[2:3], v[128:129]
	v_fma_f64 v[132:133], v[90:91], s[8:9], v[132:133]
	v_fma_f64 v[134:135], v[92:93], s[4:5], v[134:135]
	;; [unrolled: 12-line block ×4, first 2 shown]
	v_fma_f64 v[250:251], v[68:69], s[14:15], v[6:7]
	v_fma_f64 v[20:21], v[72:73], s[4:5], v[52:53]
	v_fma_f64 v[68:69], v[68:69], s[14:15], -v[6:7]
	v_fma_f64 v[6:7], v[74:75], s[2:3], v[54:55]
	v_fma_f64 v[52:53], v[72:73], s[4:5], -v[52:53]
	v_fma_f64 v[72:73], v[78:79], s[14:15], -v[58:59]
	;; [unrolled: 1-line block ×4, first 2 shown]
	v_fma_f64 v[58:59], v[78:79], s[14:15], v[58:59]
	v_fma_f64 v[78:79], v[92:93], s[2:3], -v[64:65]
	v_fma_f64 v[62:63], v[90:91], s[4:5], v[62:63]
	v_fma_f64 v[64:65], v[92:93], s[2:3], v[64:65]
	v_add_f64 v[16:17], v[84:85], v[182:183]
	v_add_f64 v[26:27], v[48:49], v[192:193]
	;; [unrolled: 1-line block ×8, first 2 shown]
	v_fma_f64 v[186:187], v[80:81], s[2:3], -v[108:109]
	v_fma_f64 v[108:109], v[80:81], s[2:3], v[108:109]
	v_fma_f64 v[206:207], v[80:81], s[14:15], -v[130:131]
	v_fma_f64 v[130:131], v[80:81], s[14:15], v[130:131]
	;; [unrolled: 2-line block ×5, first 2 shown]
	v_add_f64 v[80:81], v[84:85], v[104:105]
	v_add_f64 v[104:105], v[48:49], v[212:213]
	;; [unrolled: 1-line block ×38, first 2 shown]
	v_add_co_u32 v50, vcc_lo, 0x3000, v82
	v_add_f64 v[24:25], v[198:199], v[76:77]
	v_add_f64 v[76:77], v[132:133], v[90:91]
	;; [unrolled: 1-line block ×22, first 2 shown]
	v_add_co_ci_u32_e32 v51, vcc_lo, 0, v83, vcc_lo
	v_add_f64 v[30:31], v[130:131], v[76:77]
	v_add_f64 v[28:29], v[28:29], v[52:53]
	;; [unrolled: 1-line block ×42, first 2 shown]
	v_add_co_u32 v48, vcc_lo, 0x3800, v82
	v_add_co_ci_u32_e32 v49, vcc_lo, 0, v83, vcc_lo
	v_add_co_u32 v52, vcc_lo, 0x4000, v82
	v_add_co_ci_u32_e32 v53, vcc_lo, 0, v83, vcc_lo
	;; [unrolled: 2-line block ×3, first 2 shown]
	global_store_dwordx4 v[82:83], v[28:31], off offset:1936
	global_store_dwordx4 v[86:87], v[24:27], off offset:1824
	;; [unrolled: 1-line block ×9, first 2 shown]
	global_store_dwordx4 v[82:83], v[40:43], off
	global_store_dwordx4 v[54:55], v[36:39], off offset:928
.LBB0_15:
	s_endpgm
	.section	.rodata,"a",@progbits
	.p2align	6, 0x0
	.amdhsa_kernel fft_rtc_back_len1331_factors_11_11_11_wgs_242_tpt_121_halfLds_dp_op_CI_CI_unitstride_sbrr_dirReg
		.amdhsa_group_segment_fixed_size 0
		.amdhsa_private_segment_fixed_size 0
		.amdhsa_kernarg_size 104
		.amdhsa_user_sgpr_count 6
		.amdhsa_user_sgpr_private_segment_buffer 1
		.amdhsa_user_sgpr_dispatch_ptr 0
		.amdhsa_user_sgpr_queue_ptr 0
		.amdhsa_user_sgpr_kernarg_segment_ptr 1
		.amdhsa_user_sgpr_dispatch_id 0
		.amdhsa_user_sgpr_flat_scratch_init 0
		.amdhsa_user_sgpr_private_segment_size 0
		.amdhsa_wavefront_size32 1
		.amdhsa_uses_dynamic_stack 0
		.amdhsa_system_sgpr_private_segment_wavefront_offset 0
		.amdhsa_system_sgpr_workgroup_id_x 1
		.amdhsa_system_sgpr_workgroup_id_y 0
		.amdhsa_system_sgpr_workgroup_id_z 0
		.amdhsa_system_sgpr_workgroup_info 0
		.amdhsa_system_vgpr_workitem_id 0
		.amdhsa_next_free_vgpr 252
		.amdhsa_next_free_sgpr 38
		.amdhsa_reserve_vcc 1
		.amdhsa_reserve_flat_scratch 0
		.amdhsa_float_round_mode_32 0
		.amdhsa_float_round_mode_16_64 0
		.amdhsa_float_denorm_mode_32 3
		.amdhsa_float_denorm_mode_16_64 3
		.amdhsa_dx10_clamp 1
		.amdhsa_ieee_mode 1
		.amdhsa_fp16_overflow 0
		.amdhsa_workgroup_processor_mode 1
		.amdhsa_memory_ordered 1
		.amdhsa_forward_progress 0
		.amdhsa_shared_vgpr_count 0
		.amdhsa_exception_fp_ieee_invalid_op 0
		.amdhsa_exception_fp_denorm_src 0
		.amdhsa_exception_fp_ieee_div_zero 0
		.amdhsa_exception_fp_ieee_overflow 0
		.amdhsa_exception_fp_ieee_underflow 0
		.amdhsa_exception_fp_ieee_inexact 0
		.amdhsa_exception_int_div_zero 0
	.end_amdhsa_kernel
	.text
.Lfunc_end0:
	.size	fft_rtc_back_len1331_factors_11_11_11_wgs_242_tpt_121_halfLds_dp_op_CI_CI_unitstride_sbrr_dirReg, .Lfunc_end0-fft_rtc_back_len1331_factors_11_11_11_wgs_242_tpt_121_halfLds_dp_op_CI_CI_unitstride_sbrr_dirReg
                                        ; -- End function
	.section	.AMDGPU.csdata,"",@progbits
; Kernel info:
; codeLenInByte = 10804
; NumSgprs: 40
; NumVgprs: 252
; ScratchSize: 0
; MemoryBound: 1
; FloatMode: 240
; IeeeMode: 1
; LDSByteSize: 0 bytes/workgroup (compile time only)
; SGPRBlocks: 4
; VGPRBlocks: 31
; NumSGPRsForWavesPerEU: 40
; NumVGPRsForWavesPerEU: 252
; Occupancy: 4
; WaveLimiterHint : 1
; COMPUTE_PGM_RSRC2:SCRATCH_EN: 0
; COMPUTE_PGM_RSRC2:USER_SGPR: 6
; COMPUTE_PGM_RSRC2:TRAP_HANDLER: 0
; COMPUTE_PGM_RSRC2:TGID_X_EN: 1
; COMPUTE_PGM_RSRC2:TGID_Y_EN: 0
; COMPUTE_PGM_RSRC2:TGID_Z_EN: 0
; COMPUTE_PGM_RSRC2:TIDIG_COMP_CNT: 0
	.text
	.p2alignl 6, 3214868480
	.fill 48, 4, 3214868480
	.type	__hip_cuid_76266979903b3cd1,@object ; @__hip_cuid_76266979903b3cd1
	.section	.bss,"aw",@nobits
	.globl	__hip_cuid_76266979903b3cd1
__hip_cuid_76266979903b3cd1:
	.byte	0                               ; 0x0
	.size	__hip_cuid_76266979903b3cd1, 1

	.ident	"AMD clang version 19.0.0git (https://github.com/RadeonOpenCompute/llvm-project roc-6.4.0 25133 c7fe45cf4b819c5991fe208aaa96edf142730f1d)"
	.section	".note.GNU-stack","",@progbits
	.addrsig
	.addrsig_sym __hip_cuid_76266979903b3cd1
	.amdgpu_metadata
---
amdhsa.kernels:
  - .args:
      - .actual_access:  read_only
        .address_space:  global
        .offset:         0
        .size:           8
        .value_kind:     global_buffer
      - .offset:         8
        .size:           8
        .value_kind:     by_value
      - .actual_access:  read_only
        .address_space:  global
        .offset:         16
        .size:           8
        .value_kind:     global_buffer
      - .actual_access:  read_only
        .address_space:  global
        .offset:         24
        .size:           8
        .value_kind:     global_buffer
      - .actual_access:  read_only
        .address_space:  global
        .offset:         32
        .size:           8
        .value_kind:     global_buffer
      - .offset:         40
        .size:           8
        .value_kind:     by_value
      - .actual_access:  read_only
        .address_space:  global
        .offset:         48
        .size:           8
        .value_kind:     global_buffer
      - .actual_access:  read_only
        .address_space:  global
        .offset:         56
        .size:           8
        .value_kind:     global_buffer
      - .offset:         64
        .size:           4
        .value_kind:     by_value
      - .actual_access:  read_only
        .address_space:  global
        .offset:         72
        .size:           8
        .value_kind:     global_buffer
      - .actual_access:  read_only
        .address_space:  global
        .offset:         80
        .size:           8
        .value_kind:     global_buffer
      - .actual_access:  read_only
        .address_space:  global
        .offset:         88
        .size:           8
        .value_kind:     global_buffer
      - .actual_access:  write_only
        .address_space:  global
        .offset:         96
        .size:           8
        .value_kind:     global_buffer
    .group_segment_fixed_size: 0
    .kernarg_segment_align: 8
    .kernarg_segment_size: 104
    .language:       OpenCL C
    .language_version:
      - 2
      - 0
    .max_flat_workgroup_size: 242
    .name:           fft_rtc_back_len1331_factors_11_11_11_wgs_242_tpt_121_halfLds_dp_op_CI_CI_unitstride_sbrr_dirReg
    .private_segment_fixed_size: 0
    .sgpr_count:     40
    .sgpr_spill_count: 0
    .symbol:         fft_rtc_back_len1331_factors_11_11_11_wgs_242_tpt_121_halfLds_dp_op_CI_CI_unitstride_sbrr_dirReg.kd
    .uniform_work_group_size: 1
    .uses_dynamic_stack: false
    .vgpr_count:     252
    .vgpr_spill_count: 0
    .wavefront_size: 32
    .workgroup_processor_mode: 1
amdhsa.target:   amdgcn-amd-amdhsa--gfx1030
amdhsa.version:
  - 1
  - 2
...

	.end_amdgpu_metadata
